;; amdgpu-corpus repo=ROCm/rocFFT kind=compiled arch=gfx1030 opt=O3
	.text
	.amdgcn_target "amdgcn-amd-amdhsa--gfx1030"
	.amdhsa_code_object_version 6
	.protected	fft_rtc_fwd_len1050_factors_2_3_5_5_7_wgs_210_tpt_210_dp_ip_CI_unitstride_sbrr_C2R_dirReg ; -- Begin function fft_rtc_fwd_len1050_factors_2_3_5_5_7_wgs_210_tpt_210_dp_ip_CI_unitstride_sbrr_C2R_dirReg
	.globl	fft_rtc_fwd_len1050_factors_2_3_5_5_7_wgs_210_tpt_210_dp_ip_CI_unitstride_sbrr_C2R_dirReg
	.p2align	8
	.type	fft_rtc_fwd_len1050_factors_2_3_5_5_7_wgs_210_tpt_210_dp_ip_CI_unitstride_sbrr_C2R_dirReg,@function
fft_rtc_fwd_len1050_factors_2_3_5_5_7_wgs_210_tpt_210_dp_ip_CI_unitstride_sbrr_C2R_dirReg: ; @fft_rtc_fwd_len1050_factors_2_3_5_5_7_wgs_210_tpt_210_dp_ip_CI_unitstride_sbrr_C2R_dirReg
; %bb.0:
	s_clause 0x2
	s_load_dwordx4 s[8:11], s[4:5], 0x0
	s_load_dwordx2 s[2:3], s[4:5], 0x50
	s_load_dwordx2 s[12:13], s[4:5], 0x18
	v_mul_u32_u24_e32 v1, 0x139, v0
	v_mov_b32_e32 v3, 0
	v_add_nc_u32_sdwa v5, s6, v1 dst_sel:DWORD dst_unused:UNUSED_PAD src0_sel:DWORD src1_sel:WORD_1
	v_mov_b32_e32 v1, 0
	v_mov_b32_e32 v6, v3
	v_mov_b32_e32 v2, 0
	s_waitcnt lgkmcnt(0)
	v_cmp_lt_u64_e64 s0, s[10:11], 2
	s_and_b32 vcc_lo, exec_lo, s0
	s_cbranch_vccnz .LBB0_8
; %bb.1:
	s_load_dwordx2 s[0:1], s[4:5], 0x10
	v_mov_b32_e32 v1, 0
	s_add_u32 s6, s12, 8
	v_mov_b32_e32 v2, 0
	s_addc_u32 s7, s13, 0
	s_mov_b64 s[16:17], 1
	s_waitcnt lgkmcnt(0)
	s_add_u32 s14, s0, 8
	s_addc_u32 s15, s1, 0
.LBB0_2:                                ; =>This Inner Loop Header: Depth=1
	s_load_dwordx2 s[18:19], s[14:15], 0x0
                                        ; implicit-def: $vgpr7_vgpr8
	s_mov_b32 s0, exec_lo
	s_waitcnt lgkmcnt(0)
	v_or_b32_e32 v4, s19, v6
	v_cmpx_ne_u64_e32 0, v[3:4]
	s_xor_b32 s1, exec_lo, s0
	s_cbranch_execz .LBB0_4
; %bb.3:                                ;   in Loop: Header=BB0_2 Depth=1
	v_cvt_f32_u32_e32 v4, s18
	v_cvt_f32_u32_e32 v7, s19
	s_sub_u32 s0, 0, s18
	s_subb_u32 s20, 0, s19
	v_fmac_f32_e32 v4, 0x4f800000, v7
	v_rcp_f32_e32 v4, v4
	v_mul_f32_e32 v4, 0x5f7ffffc, v4
	v_mul_f32_e32 v7, 0x2f800000, v4
	v_trunc_f32_e32 v7, v7
	v_fmac_f32_e32 v4, 0xcf800000, v7
	v_cvt_u32_f32_e32 v7, v7
	v_cvt_u32_f32_e32 v4, v4
	v_mul_lo_u32 v8, s0, v7
	v_mul_hi_u32 v9, s0, v4
	v_mul_lo_u32 v10, s20, v4
	v_add_nc_u32_e32 v8, v9, v8
	v_mul_lo_u32 v9, s0, v4
	v_add_nc_u32_e32 v8, v8, v10
	v_mul_hi_u32 v10, v4, v9
	v_mul_lo_u32 v11, v4, v8
	v_mul_hi_u32 v12, v4, v8
	v_mul_hi_u32 v13, v7, v9
	v_mul_lo_u32 v9, v7, v9
	v_mul_hi_u32 v14, v7, v8
	v_mul_lo_u32 v8, v7, v8
	v_add_co_u32 v10, vcc_lo, v10, v11
	v_add_co_ci_u32_e32 v11, vcc_lo, 0, v12, vcc_lo
	v_add_co_u32 v9, vcc_lo, v10, v9
	v_add_co_ci_u32_e32 v9, vcc_lo, v11, v13, vcc_lo
	v_add_co_ci_u32_e32 v10, vcc_lo, 0, v14, vcc_lo
	v_add_co_u32 v8, vcc_lo, v9, v8
	v_add_co_ci_u32_e32 v9, vcc_lo, 0, v10, vcc_lo
	v_add_co_u32 v4, vcc_lo, v4, v8
	v_add_co_ci_u32_e32 v7, vcc_lo, v7, v9, vcc_lo
	v_mul_hi_u32 v8, s0, v4
	v_mul_lo_u32 v10, s20, v4
	v_mul_lo_u32 v9, s0, v7
	v_add_nc_u32_e32 v8, v8, v9
	v_mul_lo_u32 v9, s0, v4
	v_add_nc_u32_e32 v8, v8, v10
	v_mul_hi_u32 v10, v4, v9
	v_mul_lo_u32 v11, v4, v8
	v_mul_hi_u32 v12, v4, v8
	v_mul_hi_u32 v13, v7, v9
	v_mul_lo_u32 v9, v7, v9
	v_mul_hi_u32 v14, v7, v8
	v_mul_lo_u32 v8, v7, v8
	v_add_co_u32 v10, vcc_lo, v10, v11
	v_add_co_ci_u32_e32 v11, vcc_lo, 0, v12, vcc_lo
	v_add_co_u32 v9, vcc_lo, v10, v9
	v_add_co_ci_u32_e32 v9, vcc_lo, v11, v13, vcc_lo
	v_add_co_ci_u32_e32 v10, vcc_lo, 0, v14, vcc_lo
	v_add_co_u32 v8, vcc_lo, v9, v8
	v_add_co_ci_u32_e32 v9, vcc_lo, 0, v10, vcc_lo
	v_add_co_u32 v4, vcc_lo, v4, v8
	v_add_co_ci_u32_e32 v11, vcc_lo, v7, v9, vcc_lo
	v_mul_hi_u32 v13, v5, v4
	v_mad_u64_u32 v[9:10], null, v6, v4, 0
	v_mad_u64_u32 v[7:8], null, v5, v11, 0
	;; [unrolled: 1-line block ×3, first 2 shown]
	v_add_co_u32 v4, vcc_lo, v13, v7
	v_add_co_ci_u32_e32 v7, vcc_lo, 0, v8, vcc_lo
	v_add_co_u32 v4, vcc_lo, v4, v9
	v_add_co_ci_u32_e32 v4, vcc_lo, v7, v10, vcc_lo
	v_add_co_ci_u32_e32 v7, vcc_lo, 0, v12, vcc_lo
	v_add_co_u32 v4, vcc_lo, v4, v11
	v_add_co_ci_u32_e32 v9, vcc_lo, 0, v7, vcc_lo
	v_mul_lo_u32 v10, s19, v4
	v_mad_u64_u32 v[7:8], null, s18, v4, 0
	v_mul_lo_u32 v11, s18, v9
	v_sub_co_u32 v7, vcc_lo, v5, v7
	v_add3_u32 v8, v8, v11, v10
	v_sub_nc_u32_e32 v10, v6, v8
	v_subrev_co_ci_u32_e64 v10, s0, s19, v10, vcc_lo
	v_add_co_u32 v11, s0, v4, 2
	v_add_co_ci_u32_e64 v12, s0, 0, v9, s0
	v_sub_co_u32 v13, s0, v7, s18
	v_sub_co_ci_u32_e32 v8, vcc_lo, v6, v8, vcc_lo
	v_subrev_co_ci_u32_e64 v10, s0, 0, v10, s0
	v_cmp_le_u32_e32 vcc_lo, s18, v13
	v_cmp_eq_u32_e64 s0, s19, v8
	v_cndmask_b32_e64 v13, 0, -1, vcc_lo
	v_cmp_le_u32_e32 vcc_lo, s19, v10
	v_cndmask_b32_e64 v14, 0, -1, vcc_lo
	v_cmp_le_u32_e32 vcc_lo, s18, v7
	;; [unrolled: 2-line block ×3, first 2 shown]
	v_cndmask_b32_e64 v15, 0, -1, vcc_lo
	v_cmp_eq_u32_e32 vcc_lo, s19, v10
	v_cndmask_b32_e64 v7, v15, v7, s0
	v_cndmask_b32_e32 v10, v14, v13, vcc_lo
	v_add_co_u32 v13, vcc_lo, v4, 1
	v_add_co_ci_u32_e32 v14, vcc_lo, 0, v9, vcc_lo
	v_cmp_ne_u32_e32 vcc_lo, 0, v10
	v_cndmask_b32_e32 v8, v14, v12, vcc_lo
	v_cndmask_b32_e32 v10, v13, v11, vcc_lo
	v_cmp_ne_u32_e32 vcc_lo, 0, v7
	v_cndmask_b32_e32 v8, v9, v8, vcc_lo
	v_cndmask_b32_e32 v7, v4, v10, vcc_lo
.LBB0_4:                                ;   in Loop: Header=BB0_2 Depth=1
	s_andn2_saveexec_b32 s0, s1
	s_cbranch_execz .LBB0_6
; %bb.5:                                ;   in Loop: Header=BB0_2 Depth=1
	v_cvt_f32_u32_e32 v4, s18
	s_sub_i32 s1, 0, s18
	v_rcp_iflag_f32_e32 v4, v4
	v_mul_f32_e32 v4, 0x4f7ffffe, v4
	v_cvt_u32_f32_e32 v4, v4
	v_mul_lo_u32 v7, s1, v4
	v_mul_hi_u32 v7, v4, v7
	v_add_nc_u32_e32 v4, v4, v7
	v_mul_hi_u32 v4, v5, v4
	v_mul_lo_u32 v7, v4, s18
	v_add_nc_u32_e32 v8, 1, v4
	v_sub_nc_u32_e32 v7, v5, v7
	v_subrev_nc_u32_e32 v9, s18, v7
	v_cmp_le_u32_e32 vcc_lo, s18, v7
	v_cndmask_b32_e32 v7, v7, v9, vcc_lo
	v_cndmask_b32_e32 v4, v4, v8, vcc_lo
	v_cmp_le_u32_e32 vcc_lo, s18, v7
	v_add_nc_u32_e32 v8, 1, v4
	v_cndmask_b32_e32 v7, v4, v8, vcc_lo
	v_mov_b32_e32 v8, v3
.LBB0_6:                                ;   in Loop: Header=BB0_2 Depth=1
	s_or_b32 exec_lo, exec_lo, s0
	s_load_dwordx2 s[0:1], s[6:7], 0x0
	v_mul_lo_u32 v4, v8, s18
	v_mul_lo_u32 v11, v7, s19
	v_mad_u64_u32 v[9:10], null, v7, s18, 0
	s_add_u32 s16, s16, 1
	s_addc_u32 s17, s17, 0
	s_add_u32 s6, s6, 8
	s_addc_u32 s7, s7, 0
	;; [unrolled: 2-line block ×3, first 2 shown]
	v_add3_u32 v4, v10, v11, v4
	v_sub_co_u32 v5, vcc_lo, v5, v9
	v_sub_co_ci_u32_e32 v4, vcc_lo, v6, v4, vcc_lo
	s_waitcnt lgkmcnt(0)
	v_mul_lo_u32 v6, s1, v5
	v_mul_lo_u32 v4, s0, v4
	v_mad_u64_u32 v[1:2], null, s0, v5, v[1:2]
	v_cmp_ge_u64_e64 s0, s[16:17], s[10:11]
	s_and_b32 vcc_lo, exec_lo, s0
	v_add3_u32 v2, v6, v2, v4
	s_cbranch_vccnz .LBB0_9
; %bb.7:                                ;   in Loop: Header=BB0_2 Depth=1
	v_mov_b32_e32 v5, v7
	v_mov_b32_e32 v6, v8
	s_branch .LBB0_2
.LBB0_8:
	v_mov_b32_e32 v8, v6
	v_mov_b32_e32 v7, v5
.LBB0_9:
	s_lshl_b64 s[0:1], s[10:11], 3
	v_mul_hi_u32 v5, 0x1381382, v0
	s_add_u32 s0, s12, s0
	s_addc_u32 s1, s13, s1
	s_load_dwordx2 s[0:1], s[0:1], 0x0
	s_load_dwordx2 s[4:5], s[4:5], 0x20
	s_waitcnt lgkmcnt(0)
	v_mul_lo_u32 v3, s0, v8
	v_mul_lo_u32 v4, s1, v7
	v_mad_u64_u32 v[1:2], null, s0, v7, v[1:2]
	v_cmp_gt_u64_e32 vcc_lo, s[4:5], v[7:8]
	v_add3_u32 v2, v4, v2, v3
	v_mul_u32_u24_e32 v3, 0xd2, v5
	v_lshlrev_b64 v[30:31], 4, v[1:2]
	v_sub_nc_u32_e32 v28, v0, v3
	s_and_saveexec_b32 s1, vcc_lo
	s_cbranch_execz .LBB0_13
; %bb.10:
	v_mov_b32_e32 v29, 0
	v_add_co_u32 v0, s0, s2, v30
	v_add_co_ci_u32_e64 v1, s0, s3, v31, s0
	v_lshlrev_b64 v[2:3], 4, v[28:29]
	v_lshl_add_u32 v22, v28, 4, 0
	s_mov_b32 s4, exec_lo
	v_add_co_u32 v2, s0, v0, v2
	v_add_co_ci_u32_e64 v3, s0, v1, v3, s0
	v_add_co_u32 v6, s0, 0x800, v2
	v_add_co_ci_u32_e64 v7, s0, 0, v3, s0
	;; [unrolled: 2-line block ×5, first 2 shown]
	s_clause 0x4
	global_load_dwordx4 v[2:5], v[2:3], off
	global_load_dwordx4 v[6:9], v[6:7], off offset:1312
	global_load_dwordx4 v[10:13], v[10:11], off offset:576
	;; [unrolled: 1-line block ×4, first 2 shown]
	s_waitcnt vmcnt(4)
	ds_write_b128 v22, v[2:5]
	s_waitcnt vmcnt(3)
	ds_write_b128 v22, v[6:9] offset:3360
	s_waitcnt vmcnt(2)
	ds_write_b128 v22, v[10:13] offset:6720
	;; [unrolled: 2-line block ×4, first 2 shown]
	v_cmpx_eq_u32_e32 0xd1, v28
	s_cbranch_execz .LBB0_12
; %bb.11:
	v_add_co_u32 v0, s0, 0x4000, v0
	v_add_co_ci_u32_e64 v1, s0, 0, v1, s0
	v_mov_b32_e32 v28, 0xd1
	global_load_dwordx4 v[0:3], v[0:1], off offset:416
	s_waitcnt vmcnt(0)
	ds_write_b128 v29, v[0:3] offset:16800
.LBB0_12:
	s_or_b32 exec_lo, exec_lo, s4
.LBB0_13:
	s_or_b32 exec_lo, exec_lo, s1
	v_lshlrev_b32_e32 v26, 4, v28
	s_waitcnt lgkmcnt(0)
	s_barrier
	buffer_gl0_inv
	s_add_u32 s1, s8, 0x4180
	v_add_nc_u32_e32 v32, 0, v26
	v_sub_nc_u32_e32 v4, 0, v26
	s_addc_u32 s4, s9, 0
	s_mov_b32 s5, exec_lo
	ds_read_b64 v[2:3], v32
	ds_read_b64 v[5:6], v4 offset:16800
	s_waitcnt lgkmcnt(0)
	v_add_f64 v[0:1], v[2:3], v[5:6]
	v_add_f64 v[2:3], v[2:3], -v[5:6]
	v_cmpx_ne_u32_e32 0, v28
	s_xor_b32 s5, exec_lo, s5
	s_cbranch_execz .LBB0_15
; %bb.14:
	v_mov_b32_e32 v29, 0
	v_lshlrev_b64 v[5:6], 4, v[28:29]
	v_add_co_u32 v5, s0, s1, v5
	v_add_co_ci_u32_e64 v6, s0, s4, v6, s0
	global_load_dwordx4 v[5:8], v[5:6], off
	ds_read_b64 v[9:10], v4 offset:16808
	ds_read_b64 v[11:12], v32 offset:8
	s_waitcnt lgkmcnt(0)
	v_add_f64 v[13:14], v[9:10], v[11:12]
	v_add_f64 v[9:10], v[11:12], -v[9:10]
	s_waitcnt vmcnt(0)
	v_fma_f64 v[11:12], v[2:3], v[7:8], v[0:1]
	v_fma_f64 v[15:16], v[13:14], v[7:8], v[9:10]
	v_fma_f64 v[0:1], -v[2:3], v[7:8], v[0:1]
	v_fma_f64 v[17:18], v[13:14], v[7:8], -v[9:10]
	v_fma_f64 v[7:8], -v[13:14], v[5:6], v[11:12]
	v_fma_f64 v[9:10], v[2:3], v[5:6], v[15:16]
	v_fma_f64 v[0:1], v[13:14], v[5:6], v[0:1]
	;; [unrolled: 1-line block ×3, first 2 shown]
	ds_write_b128 v32, v[7:10]
	ds_write_b128 v4, v[0:3] offset:16800
                                        ; implicit-def: $vgpr0_vgpr1
.LBB0_15:
	s_andn2_saveexec_b32 s0, s5
	s_cbranch_execz .LBB0_17
; %bb.16:
	v_mov_b32_e32 v5, 0
	ds_write_b128 v32, v[0:3]
	ds_read_b128 v[0:3], v5 offset:8400
	s_waitcnt lgkmcnt(0)
	v_add_f64 v[0:1], v[0:1], v[0:1]
	v_mul_f64 v[2:3], v[2:3], -2.0
	ds_write_b128 v5, v[0:3] offset:8400
.LBB0_17:
	s_or_b32 exec_lo, exec_lo, s0
	v_add_nc_u32_e32 v24, 0xd2, v28
	v_mov_b32_e32 v25, 0
	v_lshlrev_b64 v[0:1], 4, v[24:25]
	v_add_co_u32 v0, s0, s1, v0
	v_add_co_ci_u32_e64 v1, s0, s4, v1, s0
	v_cmp_gt_u32_e64 s0, 0x69, v28
	global_load_dwordx4 v[0:3], v[0:1], off
	ds_read_b128 v[5:8], v32 offset:3360
	ds_read_b128 v[9:12], v4 offset:13440
	s_waitcnt lgkmcnt(0)
	v_add_f64 v[13:14], v[5:6], v[9:10]
	v_add_f64 v[15:16], v[11:12], v[7:8]
	v_add_f64 v[5:6], v[5:6], -v[9:10]
	v_add_f64 v[7:8], v[7:8], -v[11:12]
	s_waitcnt vmcnt(0)
	v_fma_f64 v[9:10], v[5:6], v[2:3], v[13:14]
	v_fma_f64 v[11:12], v[15:16], v[2:3], v[7:8]
	v_fma_f64 v[13:14], -v[5:6], v[2:3], v[13:14]
	v_fma_f64 v[2:3], v[15:16], v[2:3], -v[7:8]
	v_add_nc_u32_e32 v8, 0x1a4, v28
	v_fma_f64 v[9:10], -v[15:16], v[0:1], v[9:10]
	v_fma_f64 v[11:12], v[5:6], v[0:1], v[11:12]
	v_fma_f64 v[13:14], v[15:16], v[0:1], v[13:14]
	v_fma_f64 v[15:16], v[5:6], v[0:1], v[2:3]
	ds_write_b128 v32, v[9:12] offset:3360
	ds_write_b128 v4, v[13:16] offset:13440
	s_and_saveexec_b32 s5, s0
	s_cbranch_execz .LBB0_19
; %bb.18:
	v_mov_b32_e32 v9, v25
	v_lshlrev_b64 v[0:1], 4, v[8:9]
	v_add_co_u32 v0, s1, s1, v0
	v_add_co_ci_u32_e64 v1, s1, s4, v1, s1
	global_load_dwordx4 v[0:3], v[0:1], off
	ds_read_b128 v[9:12], v32 offset:6720
	ds_read_b128 v[13:16], v4 offset:10080
	s_waitcnt lgkmcnt(0)
	v_add_f64 v[5:6], v[9:10], v[13:14]
	v_add_f64 v[17:18], v[15:16], v[11:12]
	v_add_f64 v[19:20], v[9:10], -v[13:14]
	v_add_f64 v[9:10], v[11:12], -v[15:16]
	s_waitcnt vmcnt(0)
	v_fma_f64 v[11:12], v[19:20], v[2:3], v[5:6]
	v_fma_f64 v[13:14], v[17:18], v[2:3], v[9:10]
	v_fma_f64 v[5:6], -v[19:20], v[2:3], v[5:6]
	v_fma_f64 v[2:3], v[17:18], v[2:3], -v[9:10]
	v_fma_f64 v[9:10], -v[17:18], v[0:1], v[11:12]
	v_fma_f64 v[11:12], v[19:20], v[0:1], v[13:14]
	v_fma_f64 v[13:14], v[17:18], v[0:1], v[5:6]
	;; [unrolled: 1-line block ×3, first 2 shown]
	ds_write_b128 v32, v[9:12] offset:6720
	ds_write_b128 v4, v[13:16] offset:10080
.LBB0_19:
	s_or_b32 exec_lo, exec_lo, s5
	s_waitcnt lgkmcnt(0)
	s_barrier
	buffer_gl0_inv
	s_barrier
	buffer_gl0_inv
	ds_read_b128 v[0:3], v32 offset:8400
	ds_read_b128 v[16:19], v32
	ds_read_b128 v[20:23], v32 offset:3360
	ds_read_b128 v[4:7], v32 offset:11760
	;; [unrolled: 1-line block ×4, first 2 shown]
	v_add_nc_u32_e32 v25, v32, v26
	v_lshl_add_u32 v9, v24, 5, 0
	s_waitcnt lgkmcnt(0)
	s_barrier
	buffer_gl0_inv
	v_add_f64 v[37:38], v[16:17], -v[0:1]
	v_add_f64 v[39:40], v[18:19], -v[2:3]
	;; [unrolled: 1-line block ×6, first 2 shown]
	v_fma_f64 v[16:17], v[16:17], 2.0, -v[37:38]
	v_fma_f64 v[18:19], v[18:19], 2.0, -v[39:40]
	;; [unrolled: 1-line block ×6, first 2 shown]
	ds_write_b128 v25, v[37:40] offset:16
	ds_write_b128 v25, v[16:19]
	ds_write_b128 v9, v[20:23]
	ds_write_b128 v9, v[4:7] offset:16
	s_and_saveexec_b32 s1, s0
	s_cbranch_execz .LBB0_21
; %bb.20:
	v_lshl_add_u32 v8, v8, 5, 0
	ds_write_b128 v8, v[0:3]
	ds_write_b128 v8, v[12:15] offset:16
.LBB0_21:
	s_or_b32 exec_lo, exec_lo, s1
	s_waitcnt lgkmcnt(0)
	s_barrier
	buffer_gl0_inv
	ds_read_b128 v[8:11], v32
	ds_read_b128 v[20:23], v32 offset:5600
	ds_read_b128 v[16:19], v32 offset:11200
	v_cmp_gt_u32_e64 s0, 0x8c, v28
	s_and_saveexec_b32 s1, s0
	s_cbranch_execz .LBB0_23
; %bb.22:
	ds_read_b128 v[4:7], v32 offset:3360
	ds_read_b128 v[0:3], v32 offset:8960
	;; [unrolled: 1-line block ×3, first 2 shown]
.LBB0_23:
	s_or_b32 exec_lo, exec_lo, s1
	v_and_b32_e32 v27, 1, v28
	s_mov_b32 s4, 0xe8584caa
	s_mov_b32 s5, 0x3febb67a
	;; [unrolled: 1-line block ×4, first 2 shown]
	v_lshlrev_b32_e32 v29, 5, v27
	s_clause 0x1
	global_load_dwordx4 v[33:36], v29, s[8:9]
	global_load_dwordx4 v[37:40], v29, s[8:9] offset:16
	v_lshrrev_b32_e32 v29, 1, v28
	s_waitcnt vmcnt(0) lgkmcnt(0)
	s_barrier
	buffer_gl0_inv
	v_mul_u32_u24_e32 v29, 6, v29
	v_or_b32_e32 v29, v29, v27
	v_lshl_add_u32 v29, v29, 4, 0
	v_mul_f64 v[41:42], v[22:23], v[35:36]
	v_mul_f64 v[43:44], v[20:21], v[35:36]
	;; [unrolled: 1-line block ×8, first 2 shown]
	v_fma_f64 v[20:21], v[20:21], v[33:34], -v[41:42]
	v_fma_f64 v[22:23], v[22:23], v[33:34], v[43:44]
	v_fma_f64 v[41:42], v[16:17], v[37:38], -v[45:46]
	v_fma_f64 v[43:44], v[18:19], v[37:38], v[47:48]
	v_fma_f64 v[16:17], v[0:1], v[33:34], -v[49:50]
	v_fma_f64 v[18:19], v[2:3], v[33:34], v[35:36]
	v_fma_f64 v[12:13], v[12:13], v[37:38], -v[51:52]
	v_fma_f64 v[14:15], v[14:15], v[37:38], v[39:40]
	v_add_f64 v[37:38], v[8:9], v[20:21]
	v_add_f64 v[45:46], v[10:11], v[22:23]
	;; [unrolled: 1-line block ×4, first 2 shown]
	v_add_f64 v[39:40], v[22:23], -v[43:44]
	v_add_f64 v[47:48], v[20:21], -v[41:42]
	v_add_f64 v[33:34], v[16:17], v[12:13]
	v_add_f64 v[35:36], v[18:19], v[14:15]
	v_add_f64 v[20:21], v[18:19], -v[14:15]
	v_add_f64 v[22:23], v[16:17], -v[12:13]
	v_fma_f64 v[0:1], v[0:1], -0.5, v[8:9]
	v_fma_f64 v[2:3], v[2:3], -0.5, v[10:11]
	;; [unrolled: 1-line block ×4, first 2 shown]
	v_add_f64 v[33:34], v[37:38], v[41:42]
	v_add_f64 v[35:36], v[45:46], v[43:44]
	v_fma_f64 v[37:38], v[39:40], s[4:5], v[0:1]
	v_fma_f64 v[41:42], v[39:40], s[6:7], v[0:1]
	;; [unrolled: 1-line block ×6, first 2 shown]
	ds_write_b128 v29, v[33:36]
	ds_write_b128 v29, v[37:40] offset:32
	ds_write_b128 v29, v[41:44] offset:64
	s_and_saveexec_b32 s1, s0
	s_cbranch_execz .LBB0_25
; %bb.24:
	v_add_f64 v[18:19], v[6:7], v[18:19]
	v_add_f64 v[4:5], v[4:5], v[16:17]
	v_mul_f64 v[22:23], v[22:23], s[4:5]
	v_mul_f64 v[16:17], v[20:21], s[4:5]
	v_add_f64 v[14:15], v[18:19], v[14:15]
	v_add_f64 v[12:13], v[4:5], v[12:13]
	v_add_f64 v[6:7], v[10:11], -v[22:23]
	v_add_f64 v[4:5], v[16:17], v[8:9]
	v_lshrrev_b32_e32 v8, 1, v24
	v_mul_u32_u24_e32 v8, 6, v8
	v_or_b32_e32 v8, v8, v27
	v_lshl_add_u32 v8, v8, 4, 0
	ds_write_b128 v8, v[12:15]
	ds_write_b128 v8, v[4:7] offset:32
	ds_write_b128 v8, v[0:3] offset:64
.LBB0_25:
	s_or_b32 exec_lo, exec_lo, s1
	v_and_b32_e32 v29, 0xff, v28
	v_mov_b32_e32 v62, 6
	s_waitcnt lgkmcnt(0)
	s_barrier
	buffer_gl0_inv
	v_mul_lo_u16 v4, 0xab, v29
	v_sub_nc_u32_e32 v64, v25, v26
	s_mov_b32 s0, 0x134454ff
	s_mov_b32 s1, 0x3fee6f0e
	;; [unrolled: 1-line block ×3, first 2 shown]
	v_lshrrev_b16 v61, 10, v4
	s_mov_b32 s4, s0
	s_mov_b32 s6, 0x4755a5e
	;; [unrolled: 1-line block ×4, first 2 shown]
	v_mul_lo_u16 v4, v61, 6
	s_mov_b32 s10, s6
	s_mov_b32 s12, 0x372fe950
	;; [unrolled: 1-line block ×3, first 2 shown]
	v_mov_b32_e32 v65, 4
	v_sub_nc_u16 v63, v28, v4
	v_lshlrev_b32_sdwa v16, v62, v63 dst_sel:DWORD dst_unused:UNUSED_PAD src0_sel:DWORD src1_sel:BYTE_0
	s_clause 0x3
	global_load_dwordx4 v[4:7], v16, s[8:9] offset:64
	global_load_dwordx4 v[8:11], v16, s[8:9] offset:80
	;; [unrolled: 1-line block ×4, first 2 shown]
	ds_read_b128 v[20:23], v32 offset:3360
	ds_read_b128 v[24:27], v64 offset:6720
	;; [unrolled: 1-line block ×4, first 2 shown]
	ds_read_b128 v[41:44], v32
	s_waitcnt vmcnt(0) lgkmcnt(0)
	s_barrier
	buffer_gl0_inv
	v_mul_f64 v[45:46], v[22:23], v[6:7]
	v_mul_f64 v[47:48], v[26:27], v[10:11]
	;; [unrolled: 1-line block ×8, first 2 shown]
	v_fma_f64 v[20:21], v[20:21], v[4:5], -v[45:46]
	v_fma_f64 v[24:25], v[24:25], v[8:9], -v[47:48]
	;; [unrolled: 1-line block ×3, first 2 shown]
	v_fma_f64 v[8:9], v[26:27], v[8:9], v[10:11]
	v_fma_f64 v[10:11], v[35:36], v[12:13], v[14:15]
	;; [unrolled: 1-line block ×3, first 2 shown]
	v_fma_f64 v[6:7], v[37:38], v[16:17], -v[51:52]
	v_fma_f64 v[12:13], v[39:40], v[16:17], v[18:19]
	v_add_f64 v[35:36], v[41:42], v[20:21]
	v_add_f64 v[14:15], v[24:25], v[33:34]
	v_add_f64 v[18:19], v[8:9], v[10:11]
	v_add_f64 v[26:27], v[43:44], v[4:5]
	v_add_f64 v[16:17], v[20:21], v[6:7]
	v_add_f64 v[22:23], v[4:5], v[12:13]
	v_add_f64 v[37:38], v[4:5], -v[12:13]
	v_add_f64 v[45:46], v[20:21], -v[6:7]
	v_add_f64 v[39:40], v[8:9], -v[10:11]
	v_add_f64 v[49:50], v[33:34], -v[6:7]
	v_add_f64 v[51:52], v[4:5], -v[8:9]
	v_add_f64 v[4:5], v[8:9], -v[4:5]
	v_add_f64 v[55:56], v[10:11], -v[12:13]
	v_add_f64 v[47:48], v[6:7], -v[33:34]
	v_add_f64 v[53:54], v[12:13], -v[10:11]
	v_fma_f64 v[14:15], v[14:15], -0.5, v[41:42]
	v_fma_f64 v[18:19], v[18:19], -0.5, v[43:44]
	v_add_f64 v[8:9], v[26:27], v[8:9]
	v_fma_f64 v[16:17], v[16:17], -0.5, v[41:42]
	v_add_f64 v[41:42], v[24:25], -v[33:34]
	v_fma_f64 v[22:23], v[22:23], -0.5, v[43:44]
	v_add_f64 v[43:44], v[20:21], -v[24:25]
	v_add_f64 v[20:21], v[24:25], -v[20:21]
	v_add_f64 v[24:25], v[35:36], v[24:25]
	v_fma_f64 v[26:27], v[37:38], s[0:1], v[14:15]
	v_fma_f64 v[14:15], v[37:38], s[4:5], v[14:15]
	;; [unrolled: 1-line block ×8, first 2 shown]
	v_add_f64 v[20:21], v[20:21], v[49:50]
	v_add_f64 v[49:50], v[4:5], v[55:56]
	;; [unrolled: 1-line block ×6, first 2 shown]
	v_fma_f64 v[10:11], v[39:40], s[6:7], v[26:27]
	v_fma_f64 v[14:15], v[39:40], s[10:11], v[14:15]
	;; [unrolled: 1-line block ×8, first 2 shown]
	v_mul_lo_u16 v16, 0x89, v29
	v_add_f64 v[4:5], v[4:5], v[6:7]
	v_add_f64 v[6:7], v[8:9], v[12:13]
	v_lshrrev_b16 v29, 12, v16
	v_fma_f64 v[8:9], v[43:44], s[12:13], v[10:11]
	v_fma_f64 v[12:13], v[43:44], s[12:13], v[14:15]
	;; [unrolled: 1-line block ×8, first 2 shown]
	v_mov_b32_e32 v24, 0x1e0
	v_mul_lo_u16 v25, v29, 30
	v_lshlrev_b32_sdwa v26, v65, v63 dst_sel:DWORD dst_unused:UNUSED_PAD src0_sel:DWORD src1_sel:BYTE_0
	v_mul_u32_u24_sdwa v24, v61, v24 dst_sel:DWORD dst_unused:UNUSED_PAD src0_sel:WORD_0 src1_sel:DWORD
	v_sub_nc_u16 v61, v28, v25
	v_add3_u32 v24, 0, v24, v26
	v_lshlrev_b32_sdwa v25, v62, v61 dst_sel:DWORD dst_unused:UNUSED_PAD src0_sel:DWORD src1_sel:BYTE_0
	ds_write_b128 v24, v[4:7]
	ds_write_b128 v24, v[8:11] offset:96
	ds_write_b128 v24, v[16:19] offset:192
	;; [unrolled: 1-line block ×4, first 2 shown]
	s_waitcnt lgkmcnt(0)
	s_barrier
	buffer_gl0_inv
	s_clause 0x3
	global_load_dwordx4 v[4:7], v25, s[8:9] offset:448
	global_load_dwordx4 v[8:11], v25, s[8:9] offset:464
	;; [unrolled: 1-line block ×4, first 2 shown]
	ds_read_b128 v[20:23], v32 offset:3360
	ds_read_b128 v[24:27], v64 offset:6720
	;; [unrolled: 1-line block ×4, first 2 shown]
	ds_read_b128 v[41:44], v32
	s_waitcnt vmcnt(0) lgkmcnt(0)
	s_barrier
	buffer_gl0_inv
	v_mul_f64 v[45:46], v[22:23], v[6:7]
	v_mul_f64 v[47:48], v[26:27], v[10:11]
	;; [unrolled: 1-line block ×8, first 2 shown]
	v_fma_f64 v[20:21], v[20:21], v[4:5], -v[45:46]
	v_fma_f64 v[24:25], v[24:25], v[8:9], -v[47:48]
	v_fma_f64 v[33:34], v[33:34], v[12:13], -v[49:50]
	v_fma_f64 v[4:5], v[22:23], v[4:5], v[6:7]
	v_fma_f64 v[6:7], v[37:38], v[16:17], -v[51:52]
	v_fma_f64 v[8:9], v[26:27], v[8:9], v[10:11]
	v_fma_f64 v[10:11], v[35:36], v[12:13], v[14:15]
	v_fma_f64 v[12:13], v[39:40], v[16:17], v[18:19]
	v_add_f64 v[26:27], v[41:42], v[20:21]
	v_add_f64 v[14:15], v[24:25], v[33:34]
	;; [unrolled: 1-line block ×4, first 2 shown]
	v_add_f64 v[45:46], v[20:21], -v[6:7]
	v_add_f64 v[18:19], v[8:9], v[10:11]
	v_add_f64 v[22:23], v[4:5], v[12:13]
	v_add_f64 v[35:36], v[4:5], -v[12:13]
	v_add_f64 v[39:40], v[8:9], -v[10:11]
	;; [unrolled: 1-line block ×8, first 2 shown]
	v_fma_f64 v[14:15], v[14:15], -0.5, v[41:42]
	v_add_f64 v[8:9], v[37:38], v[8:9]
	v_fma_f64 v[16:17], v[16:17], -0.5, v[41:42]
	v_add_f64 v[41:42], v[24:25], -v[33:34]
	v_fma_f64 v[18:19], v[18:19], -0.5, v[43:44]
	v_fma_f64 v[22:23], v[22:23], -0.5, v[43:44]
	v_add_f64 v[43:44], v[20:21], -v[24:25]
	v_add_f64 v[20:21], v[24:25], -v[20:21]
	v_add_f64 v[24:25], v[26:27], v[24:25]
	v_fma_f64 v[26:27], v[35:36], s[0:1], v[14:15]
	v_fma_f64 v[14:15], v[35:36], s[4:5], v[14:15]
	;; [unrolled: 1-line block ×8, first 2 shown]
	v_add_f64 v[43:44], v[43:44], v[47:48]
	v_add_f64 v[47:48], v[20:21], v[49:50]
	;; [unrolled: 1-line block ×6, first 2 shown]
	v_cmp_gt_u32_e64 s0, 0x96, v28
	v_fma_f64 v[10:11], v[39:40], s[6:7], v[26:27]
	v_fma_f64 v[14:15], v[39:40], s[10:11], v[14:15]
	;; [unrolled: 1-line block ×8, first 2 shown]
	v_add_f64 v[4:5], v[4:5], v[6:7]
	v_add_f64 v[6:7], v[8:9], v[12:13]
	v_fma_f64 v[8:9], v[43:44], s[12:13], v[10:11]
	v_fma_f64 v[20:21], v[43:44], s[12:13], v[14:15]
	;; [unrolled: 1-line block ×8, first 2 shown]
	v_mov_b32_e32 v24, 0x960
	v_lshlrev_b32_sdwa v25, v65, v61 dst_sel:DWORD dst_unused:UNUSED_PAD src0_sel:DWORD src1_sel:BYTE_0
                                        ; implicit-def: $vgpr26_vgpr27
	v_mul_u32_u24_sdwa v24, v29, v24 dst_sel:DWORD dst_unused:UNUSED_PAD src0_sel:WORD_0 src1_sel:DWORD
	v_add3_u32 v24, 0, v24, v25
	ds_write_b128 v24, v[4:7]
	ds_write_b128 v24, v[8:11] offset:480
	ds_write_b128 v24, v[16:19] offset:960
	;; [unrolled: 1-line block ×4, first 2 shown]
	s_waitcnt lgkmcnt(0)
	s_barrier
	buffer_gl0_inv
	s_and_saveexec_b32 s1, s0
	s_cbranch_execz .LBB0_27
; %bb.26:
	ds_read_b128 v[4:7], v32
	ds_read_b128 v[8:11], v32 offset:2400
	ds_read_b128 v[16:19], v32 offset:4800
	;; [unrolled: 1-line block ×6, first 2 shown]
.LBB0_27:
	s_or_b32 exec_lo, exec_lo, s1
	s_waitcnt lgkmcnt(0)
	s_barrier
	buffer_gl0_inv
	s_and_saveexec_b32 s1, s0
	s_cbranch_execz .LBB0_29
; %bb.28:
	v_add_nc_u32_e32 v29, 0xffffff6a, v28
	v_mov_b32_e32 v34, 0
	s_mov_b32 s4, 0xe976ee23
	s_mov_b32 s5, 0xbfe11646
	;; [unrolled: 1-line block ×3, first 2 shown]
	v_cndmask_b32_e64 v29, v29, v28, s0
	s_mov_b32 s7, 0x3fe948f6
	s_mov_b32 s13, 0xbfe77f67
	;; [unrolled: 1-line block ×4, first 2 shown]
	v_mul_i32_i24_e32 v33, 6, v29
	s_mov_b32 s11, 0xbff2aaaa
	v_lshlrev_b64 v[33:34], 4, v[33:34]
	v_add_co_u32 v29, s0, s8, v33
	v_add_co_ci_u32_e64 v37, s0, s9, v34, s0
	s_mov_b32 s8, 0x429ad128
	v_add_co_u32 v53, s0, 0x940, v29
	v_add_co_ci_u32_e64 v54, s0, 0, v37, s0
	v_add_co_u32 v41, s0, 0x800, v29
	v_add_co_ci_u32_e64 v42, s0, 0, v37, s0
	global_load_dwordx4 v[33:36], v[53:54], off offset:16
	v_add_co_u32 v45, s0, 0x980, v29
	v_add_co_ci_u32_e64 v46, s0, 0, v37, s0
	s_clause 0x4
	global_load_dwordx4 v[37:40], v[41:42], off offset:384
	global_load_dwordx4 v[41:44], v[41:42], off offset:320
	global_load_dwordx4 v[45:48], v[45:46], off offset:16
	global_load_dwordx4 v[49:52], v[53:54], off offset:48
	global_load_dwordx4 v[53:56], v[53:54], off offset:32
	s_mov_b32 s9, 0x3febfeb5
	s_waitcnt vmcnt(5)
	v_mul_f64 v[57:58], v[18:19], v[35:36]
	v_mul_f64 v[35:36], v[16:17], v[35:36]
	s_waitcnt vmcnt(4)
	v_mul_f64 v[59:60], v[0:1], v[39:40]
	s_waitcnt vmcnt(3)
	;; [unrolled: 2-line block ×3, first 2 shown]
	v_mul_f64 v[63:64], v[24:25], v[47:48]
	v_mul_f64 v[39:40], v[2:3], v[39:40]
	;; [unrolled: 1-line block ×4, first 2 shown]
	s_waitcnt vmcnt(1)
	v_mul_f64 v[65:66], v[22:23], v[51:52]
	s_waitcnt vmcnt(0)
	v_mul_f64 v[67:68], v[14:15], v[55:56]
	v_fma_f64 v[16:17], v[16:17], v[33:34], -v[57:58]
	v_fma_f64 v[18:19], v[18:19], v[33:34], v[35:36]
	v_mul_f64 v[33:34], v[12:13], v[55:56]
	v_mul_f64 v[35:36], v[20:21], v[51:52]
	v_fma_f64 v[2:3], v[2:3], v[37:38], v[59:60]
	v_fma_f64 v[10:11], v[10:11], v[41:42], v[61:62]
	;; [unrolled: 1-line block ×3, first 2 shown]
	v_fma_f64 v[0:1], v[0:1], v[37:38], -v[39:40]
	v_fma_f64 v[8:9], v[8:9], v[41:42], -v[43:44]
	;; [unrolled: 1-line block ×5, first 2 shown]
	v_fma_f64 v[14:15], v[14:15], v[53:54], v[33:34]
	v_fma_f64 v[22:23], v[22:23], v[49:50], v[35:36]
	v_add_f64 v[33:34], v[18:19], v[2:3]
	v_add_f64 v[18:19], v[18:19], -v[2:3]
	v_add_f64 v[35:36], v[10:11], v[26:27]
	v_add_f64 v[37:38], v[16:17], v[0:1]
	v_add_f64 v[0:1], v[16:17], -v[0:1]
	v_add_f64 v[39:40], v[8:9], v[24:25]
	v_add_f64 v[8:9], v[8:9], -v[24:25]
	v_add_f64 v[41:42], v[20:21], -v[12:13]
	v_add_f64 v[2:3], v[12:13], v[20:21]
	v_add_f64 v[10:11], v[10:11], -v[26:27]
	v_add_f64 v[16:17], v[14:15], v[22:23]
	;; [unrolled: 2-line block ×3, first 2 shown]
	v_add_f64 v[20:21], v[37:38], v[39:40]
	v_add_f64 v[45:46], v[0:1], -v[8:9]
	v_add_f64 v[22:23], v[41:42], -v[0:1]
	;; [unrolled: 1-line block ×5, first 2 shown]
	v_add_f64 v[51:52], v[41:42], v[0:1]
	v_add_f64 v[41:42], v[8:9], -v[41:42]
	v_add_f64 v[24:25], v[35:36], -v[16:17]
	;; [unrolled: 1-line block ×4, first 2 shown]
	v_add_f64 v[12:13], v[16:17], v[12:13]
	v_add_f64 v[16:17], v[16:17], -v[33:34]
	v_add_f64 v[33:34], v[33:34], -v[35:36]
	v_add_f64 v[20:21], v[2:3], v[20:21]
	v_add_f64 v[35:36], v[37:38], -v[39:40]
	v_mul_f64 v[22:23], v[22:23], s[4:5]
	v_mul_f64 v[37:38], v[43:44], s[6:7]
	;; [unrolled: 1-line block ×3, first 2 shown]
	v_add_f64 v[8:9], v[51:52], v[8:9]
	v_mul_f64 v[24:25], v[24:25], s[6:7]
	v_mul_f64 v[26:27], v[26:27], s[4:5]
	s_mov_b32 s4, 0x36b3c0b5
	s_mov_b32 s5, 0x3fac98ee
	v_add_f64 v[2:3], v[6:7], v[12:13]
	v_add_f64 v[6:7], v[14:15], v[18:19]
	v_mul_f64 v[14:15], v[16:17], s[4:5]
	v_add_f64 v[0:1], v[4:5], v[20:21]
	v_mul_f64 v[18:19], v[47:48], s[8:9]
	v_mul_f64 v[4:5], v[49:50], s[4:5]
	s_mov_b32 s7, 0x3fd5d0dc
	s_mov_b32 s6, 0xb247c609
	v_fma_f64 v[43:44], v[41:42], s[6:7], v[22:23]
	v_fma_f64 v[22:23], v[45:46], s[8:9], -v[22:23]
	v_fma_f64 v[45:46], v[35:36], s[12:13], -v[37:38]
	v_fma_f64 v[16:17], v[16:17], s[4:5], v[24:25]
	v_fma_f64 v[51:52], v[53:54], s[6:7], v[26:27]
	s_mov_b32 s7, 0xbfd5d0dc
	v_fma_f64 v[24:25], v[33:34], s[12:13], -v[24:25]
	s_mov_b32 s13, 0x3fe77f67
	v_fma_f64 v[39:40], v[41:42], s[6:7], -v[39:40]
	v_fma_f64 v[12:13], v[12:13], s[10:11], v[2:3]
	v_add_f64 v[6:7], v[6:7], v[10:11]
	v_fma_f64 v[10:11], v[33:34], s[12:13], -v[14:15]
	v_fma_f64 v[14:15], v[49:50], s[4:5], v[37:38]
	v_fma_f64 v[20:21], v[20:21], s[10:11], v[0:1]
	v_fma_f64 v[18:19], v[53:54], s[6:7], -v[18:19]
	v_fma_f64 v[26:27], v[47:48], s[8:9], -v[26:27]
	;; [unrolled: 1-line block ×3, first 2 shown]
	s_mov_b32 s4, 0x37c3f68c
	s_mov_b32 s5, 0x3fdc38aa
	v_fma_f64 v[33:34], v[8:9], s[4:5], v[43:44]
	v_fma_f64 v[22:23], v[8:9], s[4:5], v[22:23]
	;; [unrolled: 1-line block ×3, first 2 shown]
	v_add_f64 v[16:17], v[16:17], v[12:13]
	v_add_f64 v[24:25], v[24:25], v[12:13]
	;; [unrolled: 1-line block ×3, first 2 shown]
	v_fma_f64 v[35:36], v[6:7], s[4:5], v[51:52]
	v_add_f64 v[41:42], v[14:15], v[20:21]
	v_fma_f64 v[39:40], v[6:7], s[4:5], v[18:19]
	v_add_f64 v[43:44], v[45:46], v[20:21]
	;; [unrolled: 2-line block ×3, first 2 shown]
	v_add_f64 v[26:27], v[16:17], -v[33:34]
	v_add_f64 v[10:11], v[8:9], v[24:25]
	v_add_f64 v[14:15], v[12:13], -v[22:23]
	v_add_f64 v[18:19], v[22:23], v[12:13]
	v_add_f64 v[22:23], v[24:25], -v[8:9]
	v_add_f64 v[24:25], v[35:36], v[41:42]
	v_add_f64 v[20:21], v[39:40], v[43:44]
	v_add_f64 v[6:7], v[33:34], v[16:17]
	v_add_f64 v[16:17], v[4:5], -v[37:38]
	v_add_f64 v[12:13], v[37:38], v[4:5]
	v_add_f64 v[8:9], v[43:44], -v[39:40]
	v_add_f64 v[4:5], v[41:42], -v[35:36]
	ds_write_b128 v32, v[0:3]
	ds_write_b128 v32, v[24:27] offset:2400
	ds_write_b128 v32, v[20:23] offset:4800
	;; [unrolled: 1-line block ×6, first 2 shown]
.LBB0_29:
	s_or_b32 exec_lo, exec_lo, s1
	s_waitcnt lgkmcnt(0)
	s_barrier
	buffer_gl0_inv
	s_and_saveexec_b32 s0, vcc_lo
	s_cbranch_execz .LBB0_31
; %bb.30:
	v_mov_b32_e32 v29, 0
	v_add_nc_u32_e32 v2, 0xd2, v28
	v_add_co_u32 v30, vcc_lo, s2, v30
	v_add_co_ci_u32_e32 v31, vcc_lo, s3, v31, vcc_lo
	v_mov_b32_e32 v3, v29
	v_lshlrev_b64 v[0:1], 4, v[28:29]
	v_lshl_add_u32 v16, v28, 4, 0
	v_add_nc_u32_e32 v10, 0x1a4, v28
	v_mov_b32_e32 v11, v29
	v_lshlrev_b64 v[8:9], 4, v[2:3]
	v_add_nc_u32_e32 v24, 0x276, v28
	v_add_co_u32 v20, vcc_lo, v30, v0
	v_add_co_ci_u32_e32 v21, vcc_lo, v31, v1, vcc_lo
	v_add_co_u32 v22, vcc_lo, v30, v8
	ds_read_b128 v[0:3], v16
	ds_read_b128 v[4:7], v16 offset:3360
	v_add_co_ci_u32_e32 v23, vcc_lo, v31, v9, vcc_lo
	v_lshlrev_b64 v[26:27], 4, v[10:11]
	ds_read_b128 v[8:11], v16 offset:6720
	ds_read_b128 v[12:15], v16 offset:10080
	ds_read_b128 v[16:19], v16 offset:13440
	v_mov_b32_e32 v25, v29
	v_add_nc_u32_e32 v28, 0x348, v28
	v_add_co_u32 v26, vcc_lo, v30, v26
	v_lshlrev_b64 v[24:25], 4, v[24:25]
	v_lshlrev_b64 v[28:29], 4, v[28:29]
	v_add_co_ci_u32_e32 v27, vcc_lo, v31, v27, vcc_lo
	v_add_co_u32 v24, vcc_lo, v30, v24
	v_add_co_ci_u32_e32 v25, vcc_lo, v31, v25, vcc_lo
	v_add_co_u32 v28, vcc_lo, v30, v28
	v_add_co_ci_u32_e32 v29, vcc_lo, v31, v29, vcc_lo
	s_waitcnt lgkmcnt(4)
	global_store_dwordx4 v[20:21], v[0:3], off
	s_waitcnt lgkmcnt(3)
	global_store_dwordx4 v[22:23], v[4:7], off
	;; [unrolled: 2-line block ×5, first 2 shown]
.LBB0_31:
	s_endpgm
	.section	.rodata,"a",@progbits
	.p2align	6, 0x0
	.amdhsa_kernel fft_rtc_fwd_len1050_factors_2_3_5_5_7_wgs_210_tpt_210_dp_ip_CI_unitstride_sbrr_C2R_dirReg
		.amdhsa_group_segment_fixed_size 0
		.amdhsa_private_segment_fixed_size 0
		.amdhsa_kernarg_size 88
		.amdhsa_user_sgpr_count 6
		.amdhsa_user_sgpr_private_segment_buffer 1
		.amdhsa_user_sgpr_dispatch_ptr 0
		.amdhsa_user_sgpr_queue_ptr 0
		.amdhsa_user_sgpr_kernarg_segment_ptr 1
		.amdhsa_user_sgpr_dispatch_id 0
		.amdhsa_user_sgpr_flat_scratch_init 0
		.amdhsa_user_sgpr_private_segment_size 0
		.amdhsa_wavefront_size32 1
		.amdhsa_uses_dynamic_stack 0
		.amdhsa_system_sgpr_private_segment_wavefront_offset 0
		.amdhsa_system_sgpr_workgroup_id_x 1
		.amdhsa_system_sgpr_workgroup_id_y 0
		.amdhsa_system_sgpr_workgroup_id_z 0
		.amdhsa_system_sgpr_workgroup_info 0
		.amdhsa_system_vgpr_workitem_id 0
		.amdhsa_next_free_vgpr 69
		.amdhsa_next_free_sgpr 21
		.amdhsa_reserve_vcc 1
		.amdhsa_reserve_flat_scratch 0
		.amdhsa_float_round_mode_32 0
		.amdhsa_float_round_mode_16_64 0
		.amdhsa_float_denorm_mode_32 3
		.amdhsa_float_denorm_mode_16_64 3
		.amdhsa_dx10_clamp 1
		.amdhsa_ieee_mode 1
		.amdhsa_fp16_overflow 0
		.amdhsa_workgroup_processor_mode 1
		.amdhsa_memory_ordered 1
		.amdhsa_forward_progress 0
		.amdhsa_shared_vgpr_count 0
		.amdhsa_exception_fp_ieee_invalid_op 0
		.amdhsa_exception_fp_denorm_src 0
		.amdhsa_exception_fp_ieee_div_zero 0
		.amdhsa_exception_fp_ieee_overflow 0
		.amdhsa_exception_fp_ieee_underflow 0
		.amdhsa_exception_fp_ieee_inexact 0
		.amdhsa_exception_int_div_zero 0
	.end_amdhsa_kernel
	.text
.Lfunc_end0:
	.size	fft_rtc_fwd_len1050_factors_2_3_5_5_7_wgs_210_tpt_210_dp_ip_CI_unitstride_sbrr_C2R_dirReg, .Lfunc_end0-fft_rtc_fwd_len1050_factors_2_3_5_5_7_wgs_210_tpt_210_dp_ip_CI_unitstride_sbrr_C2R_dirReg
                                        ; -- End function
	.section	.AMDGPU.csdata,"",@progbits
; Kernel info:
; codeLenInByte = 6372
; NumSgprs: 23
; NumVgprs: 69
; ScratchSize: 0
; MemoryBound: 0
; FloatMode: 240
; IeeeMode: 1
; LDSByteSize: 0 bytes/workgroup (compile time only)
; SGPRBlocks: 2
; VGPRBlocks: 8
; NumSGPRsForWavesPerEU: 23
; NumVGPRsForWavesPerEU: 69
; Occupancy: 12
; WaveLimiterHint : 1
; COMPUTE_PGM_RSRC2:SCRATCH_EN: 0
; COMPUTE_PGM_RSRC2:USER_SGPR: 6
; COMPUTE_PGM_RSRC2:TRAP_HANDLER: 0
; COMPUTE_PGM_RSRC2:TGID_X_EN: 1
; COMPUTE_PGM_RSRC2:TGID_Y_EN: 0
; COMPUTE_PGM_RSRC2:TGID_Z_EN: 0
; COMPUTE_PGM_RSRC2:TIDIG_COMP_CNT: 0
	.text
	.p2alignl 6, 3214868480
	.fill 48, 4, 3214868480
	.type	__hip_cuid_eb1a5aca9d1b0ff1,@object ; @__hip_cuid_eb1a5aca9d1b0ff1
	.section	.bss,"aw",@nobits
	.globl	__hip_cuid_eb1a5aca9d1b0ff1
__hip_cuid_eb1a5aca9d1b0ff1:
	.byte	0                               ; 0x0
	.size	__hip_cuid_eb1a5aca9d1b0ff1, 1

	.ident	"AMD clang version 19.0.0git (https://github.com/RadeonOpenCompute/llvm-project roc-6.4.0 25133 c7fe45cf4b819c5991fe208aaa96edf142730f1d)"
	.section	".note.GNU-stack","",@progbits
	.addrsig
	.addrsig_sym __hip_cuid_eb1a5aca9d1b0ff1
	.amdgpu_metadata
---
amdhsa.kernels:
  - .args:
      - .actual_access:  read_only
        .address_space:  global
        .offset:         0
        .size:           8
        .value_kind:     global_buffer
      - .offset:         8
        .size:           8
        .value_kind:     by_value
      - .actual_access:  read_only
        .address_space:  global
        .offset:         16
        .size:           8
        .value_kind:     global_buffer
      - .actual_access:  read_only
        .address_space:  global
        .offset:         24
        .size:           8
        .value_kind:     global_buffer
      - .offset:         32
        .size:           8
        .value_kind:     by_value
      - .actual_access:  read_only
        .address_space:  global
        .offset:         40
        .size:           8
        .value_kind:     global_buffer
      - .actual_access:  read_only
        .address_space:  global
        .offset:         48
        .size:           8
        .value_kind:     global_buffer
      - .offset:         56
        .size:           4
        .value_kind:     by_value
      - .actual_access:  read_only
        .address_space:  global
        .offset:         64
        .size:           8
        .value_kind:     global_buffer
      - .actual_access:  read_only
        .address_space:  global
        .offset:         72
        .size:           8
        .value_kind:     global_buffer
      - .address_space:  global
        .offset:         80
        .size:           8
        .value_kind:     global_buffer
    .group_segment_fixed_size: 0
    .kernarg_segment_align: 8
    .kernarg_segment_size: 88
    .language:       OpenCL C
    .language_version:
      - 2
      - 0
    .max_flat_workgroup_size: 210
    .name:           fft_rtc_fwd_len1050_factors_2_3_5_5_7_wgs_210_tpt_210_dp_ip_CI_unitstride_sbrr_C2R_dirReg
    .private_segment_fixed_size: 0
    .sgpr_count:     23
    .sgpr_spill_count: 0
    .symbol:         fft_rtc_fwd_len1050_factors_2_3_5_5_7_wgs_210_tpt_210_dp_ip_CI_unitstride_sbrr_C2R_dirReg.kd
    .uniform_work_group_size: 1
    .uses_dynamic_stack: false
    .vgpr_count:     69
    .vgpr_spill_count: 0
    .wavefront_size: 32
    .workgroup_processor_mode: 1
amdhsa.target:   amdgcn-amd-amdhsa--gfx1030
amdhsa.version:
  - 1
  - 2
...

	.end_amdgpu_metadata
